;; amdgpu-corpus repo=ROCm/rocFFT kind=compiled arch=gfx906 opt=O3
	.text
	.amdgcn_target "amdgcn-amd-amdhsa--gfx906"
	.amdhsa_code_object_version 6
	.protected	fft_rtc_fwd_len169_factors_13_13_wgs_156_tpt_13_sp_ip_CI_sbcc_twdbase5_3step_dirReg_intrinsicReadWrite ; -- Begin function fft_rtc_fwd_len169_factors_13_13_wgs_156_tpt_13_sp_ip_CI_sbcc_twdbase5_3step_dirReg_intrinsicReadWrite
	.globl	fft_rtc_fwd_len169_factors_13_13_wgs_156_tpt_13_sp_ip_CI_sbcc_twdbase5_3step_dirReg_intrinsicReadWrite
	.p2align	8
	.type	fft_rtc_fwd_len169_factors_13_13_wgs_156_tpt_13_sp_ip_CI_sbcc_twdbase5_3step_dirReg_intrinsicReadWrite,@function
fft_rtc_fwd_len169_factors_13_13_wgs_156_tpt_13_sp_ip_CI_sbcc_twdbase5_3step_dirReg_intrinsicReadWrite: ; @fft_rtc_fwd_len169_factors_13_13_wgs_156_tpt_13_sp_ip_CI_sbcc_twdbase5_3step_dirReg_intrinsicReadWrite
; %bb.0:
	s_load_dwordx8 s[8:15], s[4:5], 0x8
	s_movk_i32 s0, 0x60
	v_cmp_gt_u32_e32 vcc, s0, v0
	s_and_saveexec_b64 s[0:1], vcc
	s_cbranch_execz .LBB0_2
; %bb.1:
	v_lshlrev_b32_e32 v3, 3, v0
	s_waitcnt lgkmcnt(0)
	global_load_dwordx2 v[1:2], v3, s[8:9]
	v_add_u32_e32 v3, 0, v3
	s_waitcnt vmcnt(0)
	ds_write_b64 v3, v[1:2] offset:16224
.LBB0_2:
	s_or_b64 exec, exec, s[0:1]
	s_waitcnt lgkmcnt(0)
	s_load_dwordx2 s[20:21], s[12:13], 0x8
	s_mov_b32 s7, 0
	s_mov_b64 s[24:25], 0
	s_waitcnt lgkmcnt(0)
	s_add_u32 s0, s20, -1
	s_addc_u32 s1, s21, -1
	s_add_u32 s2, 0, 0x55540000
	s_addc_u32 s3, 0, 0x55
	s_mul_hi_u32 s9, s2, -12
	s_add_i32 s3, s3, 0x15555500
	s_sub_i32 s9, s9, s2
	s_mul_i32 s18, s3, -12
	s_mul_i32 s8, s2, -12
	s_add_i32 s9, s9, s18
	s_mul_hi_u32 s16, s3, s8
	s_mul_i32 s17, s3, s8
	s_mul_i32 s19, s2, s9
	s_mul_hi_u32 s8, s2, s8
	s_mul_hi_u32 s18, s2, s9
	s_add_u32 s8, s8, s19
	s_addc_u32 s18, 0, s18
	s_add_u32 s8, s8, s17
	s_mul_hi_u32 s19, s3, s9
	s_addc_u32 s8, s18, s16
	s_addc_u32 s16, s19, 0
	s_mul_i32 s9, s3, s9
	s_add_u32 s8, s8, s9
	v_mov_b32_e32 v1, s8
	s_addc_u32 s9, 0, s16
	v_add_co_u32_e32 v1, vcc, s2, v1
	s_cmp_lg_u64 vcc, 0
	s_addc_u32 s2, s3, s9
	v_readfirstlane_b32 s9, v1
	s_mul_i32 s8, s0, s2
	s_mul_hi_u32 s16, s0, s9
	s_mul_hi_u32 s3, s0, s2
	s_add_u32 s8, s16, s8
	s_addc_u32 s3, 0, s3
	s_mul_hi_u32 s17, s1, s9
	s_mul_i32 s9, s1, s9
	s_add_u32 s8, s8, s9
	s_mul_hi_u32 s16, s1, s2
	s_addc_u32 s3, s3, s17
	s_addc_u32 s8, s16, 0
	s_mul_i32 s2, s1, s2
	s_add_u32 s2, s3, s2
	s_addc_u32 s3, 0, s8
	s_add_u32 s8, s2, 1
	s_addc_u32 s9, s3, 0
	s_add_u32 s16, s2, 2
	s_mul_i32 s18, s3, 12
	s_mul_hi_u32 s19, s2, 12
	s_addc_u32 s17, s3, 0
	s_add_i32 s19, s19, s18
	s_mul_i32 s18, s2, 12
	v_mov_b32_e32 v1, s18
	v_sub_co_u32_e32 v1, vcc, s0, v1
	s_cmp_lg_u64 vcc, 0
	s_subb_u32 s0, s1, s19
	v_subrev_co_u32_e32 v2, vcc, 12, v1
	s_cmp_lg_u64 vcc, 0
	s_subb_u32 s1, s0, 0
	v_readfirstlane_b32 s18, v2
	s_cmp_gt_u32 s18, 11
	s_cselect_b32 s18, -1, 0
	s_cmp_eq_u32 s1, 0
	s_cselect_b32 s1, s18, -1
	s_cmp_lg_u32 s1, 0
	s_cselect_b32 s1, s16, s8
	s_cselect_b32 s8, s17, s9
	v_readfirstlane_b32 s9, v1
	s_cmp_gt_u32 s9, 11
	s_cselect_b32 s9, -1, 0
	s_cmp_eq_u32 s0, 0
	s_cselect_b32 s0, s9, -1
	s_cmp_lg_u32 s0, 0
	s_cselect_b32 s1, s1, s2
	s_cselect_b32 s0, s8, s3
	s_add_u32 s22, s1, 1
	s_addc_u32 s23, s0, 0
	v_mov_b32_e32 v1, s22
	v_mov_b32_e32 v2, s23
	v_cmp_lt_u64_e32 vcc, s[6:7], v[1:2]
	s_cbranch_vccnz .LBB0_4
; %bb.3:
	v_cvt_f32_u32_e32 v1, s22
	s_sub_i32 s0, 0, s22
	s_mov_b32 s25, s7
	v_rcp_iflag_f32_e32 v1, v1
	v_mul_f32_e32 v1, 0x4f7ffffe, v1
	v_cvt_u32_f32_e32 v1, v1
	v_readfirstlane_b32 s1, v1
	s_mul_i32 s0, s0, s1
	s_mul_hi_u32 s0, s1, s0
	s_add_i32 s1, s1, s0
	s_mul_hi_u32 s0, s6, s1
	s_mul_i32 s2, s0, s22
	s_sub_i32 s2, s6, s2
	s_add_i32 s1, s0, 1
	s_sub_i32 s3, s2, s22
	s_cmp_ge_u32 s2, s22
	s_cselect_b32 s0, s1, s0
	s_cselect_b32 s2, s3, s2
	s_add_i32 s1, s0, 1
	s_cmp_ge_u32 s2, s22
	s_cselect_b32 s24, s1, s0
.LBB0_4:
	s_mul_i32 s0, s24, s23
	s_mul_hi_u32 s1, s24, s22
	s_load_dwordx2 s[8:9], s[4:5], 0x58
	s_load_dwordx2 s[2:3], s[4:5], 0x0
	s_load_dwordx4 s[16:19], s[14:15], 0x0
	s_add_i32 s1, s1, s0
	s_mul_i32 s0, s24, s22
	s_sub_u32 s33, s6, s0
	s_subb_u32 s0, 0, s1
	s_mul_i32 s0, s0, 12
	s_waitcnt lgkmcnt(0)
	s_mul_hi_u32 s17, s33, 12
	s_add_i32 s17, s17, s0
	s_mul_i32 s33, s33, 12
	s_mul_i32 s0, s18, s17
	s_mul_hi_u32 s1, s18, s33
	s_add_i32 s0, s1, s0
	s_mul_i32 s1, s19, s33
	s_add_i32 s36, s0, s1
	v_cmp_lt_u64_e64 s[0:1], s[10:11], 3
	s_mul_i32 s19, s18, s33
	s_and_b64 vcc, exec, s[0:1]
	s_cbranch_vccnz .LBB0_12
; %bb.5:
	s_add_u32 s4, s14, 16
	s_addc_u32 s5, s15, 0
	s_add_u32 s12, s12, 16
	v_mov_b32_e32 v1, s10
	s_addc_u32 s13, s13, 0
	s_mov_b64 s[26:27], 2
	s_mov_b32 s28, 0
	v_mov_b32_e32 v2, s11
.LBB0_6:                                ; =>This Inner Loop Header: Depth=1
	s_load_dwordx2 s[30:31], s[12:13], 0x0
	s_waitcnt lgkmcnt(0)
	s_or_b64 s[0:1], s[24:25], s[30:31]
	s_mov_b32 s29, s1
	s_cmp_lg_u64 s[28:29], 0
	s_cbranch_scc0 .LBB0_11
; %bb.7:                                ;   in Loop: Header=BB0_6 Depth=1
	v_cvt_f32_u32_e32 v3, s30
	v_cvt_f32_u32_e32 v4, s31
	s_sub_u32 s0, 0, s30
	s_subb_u32 s1, 0, s31
	v_mac_f32_e32 v3, 0x4f800000, v4
	v_rcp_f32_e32 v3, v3
	v_mul_f32_e32 v3, 0x5f7ffffc, v3
	v_mul_f32_e32 v4, 0x2f800000, v3
	v_trunc_f32_e32 v4, v4
	v_mac_f32_e32 v3, 0xcf800000, v4
	v_cvt_u32_f32_e32 v4, v4
	v_cvt_u32_f32_e32 v3, v3
	v_readfirstlane_b32 s29, v4
	v_readfirstlane_b32 s34, v3
	s_mul_i32 s35, s0, s29
	s_mul_hi_u32 s38, s0, s34
	s_mul_i32 s37, s1, s34
	s_add_i32 s35, s38, s35
	s_mul_i32 s39, s0, s34
	s_add_i32 s35, s35, s37
	s_mul_hi_u32 s37, s34, s35
	s_mul_i32 s38, s34, s35
	s_mul_hi_u32 s34, s34, s39
	s_add_u32 s34, s34, s38
	s_addc_u32 s37, 0, s37
	s_mul_hi_u32 s40, s29, s39
	s_mul_i32 s39, s29, s39
	s_add_u32 s34, s34, s39
	s_mul_hi_u32 s38, s29, s35
	s_addc_u32 s34, s37, s40
	s_addc_u32 s37, s38, 0
	s_mul_i32 s35, s29, s35
	s_add_u32 s34, s34, s35
	s_addc_u32 s35, 0, s37
	v_add_co_u32_e32 v3, vcc, s34, v3
	s_cmp_lg_u64 vcc, 0
	s_addc_u32 s29, s29, s35
	v_readfirstlane_b32 s35, v3
	s_mul_i32 s34, s0, s29
	s_mul_hi_u32 s37, s0, s35
	s_add_i32 s34, s37, s34
	s_mul_i32 s1, s1, s35
	s_add_i32 s34, s34, s1
	s_mul_i32 s0, s0, s35
	s_mul_hi_u32 s37, s29, s0
	s_mul_i32 s38, s29, s0
	s_mul_i32 s40, s35, s34
	s_mul_hi_u32 s0, s35, s0
	s_mul_hi_u32 s39, s35, s34
	s_add_u32 s0, s0, s40
	s_addc_u32 s35, 0, s39
	s_add_u32 s0, s0, s38
	s_mul_hi_u32 s1, s29, s34
	s_addc_u32 s0, s35, s37
	s_addc_u32 s1, s1, 0
	s_mul_i32 s34, s29, s34
	s_add_u32 s0, s0, s34
	s_addc_u32 s1, 0, s1
	v_add_co_u32_e32 v3, vcc, s0, v3
	s_cmp_lg_u64 vcc, 0
	s_addc_u32 s0, s29, s1
	v_readfirstlane_b32 s34, v3
	s_mul_i32 s29, s24, s0
	s_mul_hi_u32 s35, s24, s34
	s_mul_hi_u32 s1, s24, s0
	s_add_u32 s29, s35, s29
	s_addc_u32 s1, 0, s1
	s_mul_hi_u32 s37, s25, s34
	s_mul_i32 s34, s25, s34
	s_add_u32 s29, s29, s34
	s_mul_hi_u32 s35, s25, s0
	s_addc_u32 s1, s1, s37
	s_addc_u32 s29, s35, 0
	s_mul_i32 s0, s25, s0
	s_add_u32 s34, s1, s0
	s_addc_u32 s29, 0, s29
	s_mul_i32 s0, s30, s29
	s_mul_hi_u32 s1, s30, s34
	s_add_i32 s0, s1, s0
	s_mul_i32 s1, s31, s34
	s_add_i32 s35, s0, s1
	s_mul_i32 s1, s30, s34
	v_mov_b32_e32 v3, s1
	s_sub_i32 s0, s25, s35
	v_sub_co_u32_e32 v3, vcc, s24, v3
	s_cmp_lg_u64 vcc, 0
	s_subb_u32 s37, s0, s31
	v_subrev_co_u32_e64 v4, s[0:1], s30, v3
	s_cmp_lg_u64 s[0:1], 0
	s_subb_u32 s0, s37, 0
	s_cmp_ge_u32 s0, s31
	v_readfirstlane_b32 s37, v4
	s_cselect_b32 s1, -1, 0
	s_cmp_ge_u32 s37, s30
	s_cselect_b32 s37, -1, 0
	s_cmp_eq_u32 s0, s31
	s_cselect_b32 s0, s37, s1
	s_add_u32 s1, s34, 1
	s_addc_u32 s37, s29, 0
	s_add_u32 s38, s34, 2
	s_addc_u32 s39, s29, 0
	s_cmp_lg_u32 s0, 0
	s_cselect_b32 s0, s38, s1
	s_cselect_b32 s1, s39, s37
	s_cmp_lg_u64 vcc, 0
	s_subb_u32 s35, s25, s35
	s_cmp_ge_u32 s35, s31
	v_readfirstlane_b32 s38, v3
	s_cselect_b32 s37, -1, 0
	s_cmp_ge_u32 s38, s30
	s_cselect_b32 s38, -1, 0
	s_cmp_eq_u32 s35, s31
	s_cselect_b32 s35, s38, s37
	s_cmp_lg_u32 s35, 0
	s_cselect_b32 s1, s1, s29
	s_cselect_b32 s0, s0, s34
	s_cbranch_execnz .LBB0_9
.LBB0_8:                                ;   in Loop: Header=BB0_6 Depth=1
	v_cvt_f32_u32_e32 v3, s30
	s_sub_i32 s0, 0, s30
	v_rcp_iflag_f32_e32 v3, v3
	v_mul_f32_e32 v3, 0x4f7ffffe, v3
	v_cvt_u32_f32_e32 v3, v3
	v_readfirstlane_b32 s1, v3
	s_mul_i32 s0, s0, s1
	s_mul_hi_u32 s0, s1, s0
	s_add_i32 s1, s1, s0
	s_mul_hi_u32 s0, s24, s1
	s_mul_i32 s29, s0, s30
	s_sub_i32 s29, s24, s29
	s_add_i32 s1, s0, 1
	s_sub_i32 s34, s29, s30
	s_cmp_ge_u32 s29, s30
	s_cselect_b32 s0, s1, s0
	s_cselect_b32 s29, s34, s29
	s_add_i32 s1, s0, 1
	s_cmp_ge_u32 s29, s30
	s_cselect_b32 s0, s1, s0
	s_mov_b32 s1, s28
.LBB0_9:                                ;   in Loop: Header=BB0_6 Depth=1
	s_mul_i32 s23, s30, s23
	s_mul_hi_u32 s29, s30, s22
	s_add_i32 s23, s29, s23
	s_mul_i32 s29, s31, s22
	s_add_i32 s23, s23, s29
	s_mul_i32 s29, s0, s31
	s_mul_hi_u32 s31, s0, s30
	s_load_dwordx2 s[34:35], s[4:5], 0x0
	s_add_i32 s29, s31, s29
	s_mul_i32 s31, s1, s30
	s_mul_i32 s22, s30, s22
	s_add_i32 s29, s29, s31
	s_mul_i32 s30, s0, s30
	s_sub_u32 s24, s24, s30
	s_subb_u32 s25, s25, s29
	s_waitcnt lgkmcnt(0)
	s_mul_i32 s25, s34, s25
	s_mul_hi_u32 s29, s34, s24
	s_add_i32 s25, s29, s25
	s_mul_i32 s29, s35, s24
	s_add_i32 s25, s25, s29
	s_mul_i32 s24, s34, s24
	s_add_u32 s19, s24, s19
	s_addc_u32 s36, s25, s36
	s_add_u32 s26, s26, 1
	s_addc_u32 s27, s27, 0
	;; [unrolled: 2-line block ×3, first 2 shown]
	v_cmp_ge_u64_e32 vcc, s[26:27], v[1:2]
	s_add_u32 s12, s12, 8
	s_addc_u32 s13, s13, 0
	s_cbranch_vccnz .LBB0_13
; %bb.10:                               ;   in Loop: Header=BB0_6 Depth=1
	s_mov_b64 s[24:25], s[0:1]
	s_branch .LBB0_6
.LBB0_11:                               ;   in Loop: Header=BB0_6 Depth=1
                                        ; implicit-def: $sgpr0_sgpr1
	s_branch .LBB0_8
.LBB0_12:
	v_mov_b32_e32 v1, s24
	v_mov_b32_e32 v2, s25
	s_branch .LBB0_15
.LBB0_13:
	v_mov_b32_e32 v1, s22
	v_mov_b32_e32 v2, s23
	v_cmp_lt_u64_e32 vcc, s[6:7], v[1:2]
	v_mov_b32_e32 v1, 0
	v_mov_b32_e32 v2, 0
	s_cbranch_vccnz .LBB0_15
; %bb.14:
	v_cvt_f32_u32_e32 v1, s22
	s_sub_i32 s0, 0, s22
	v_rcp_iflag_f32_e32 v1, v1
	v_mul_f32_e32 v1, 0x4f7ffffe, v1
	v_cvt_u32_f32_e32 v1, v1
	v_mul_lo_u32 v2, s0, v1
	v_mul_hi_u32 v2, v1, v2
	v_add_u32_e32 v1, v1, v2
	v_mul_hi_u32 v1, s6, v1
	v_mul_lo_u32 v2, v1, s22
	v_add_u32_e32 v3, 1, v1
	v_sub_u32_e32 v2, s6, v2
	v_subrev_u32_e32 v4, s22, v2
	v_cmp_le_u32_e32 vcc, s22, v2
	v_cndmask_b32_e32 v2, v2, v4, vcc
	v_cndmask_b32_e32 v1, v1, v3, vcc
	v_add_u32_e32 v3, 1, v1
	v_cmp_le_u32_e32 vcc, s22, v2
	v_cndmask_b32_e32 v1, v1, v3, vcc
.LBB0_15:
	s_lshl_b64 s[0:1], s[10:11], 3
	s_add_u32 s0, s14, s0
	s_addc_u32 s1, s15, s1
	s_load_dword s0, s[0:1], 0x0
	s_mov_b32 s1, 0x15555556
	v_mul_hi_u32 v18, v0, s1
	v_mov_b32_e32 v2, s17
	s_mov_b32 s11, 0x20000
	s_waitcnt lgkmcnt(0)
	v_mul_lo_u32 v1, s0, v1
	v_mul_u32_u24_e32 v3, 12, v18
	v_sub_u32_e32 v19, v0, v3
	s_add_u32 s0, s33, 12
	v_add_u32_e32 v5, s19, v1
	v_add_co_u32_e32 v1, vcc, s33, v19
	v_mov_b32_e32 v3, s20
	v_addc_co_u32_e32 v2, vcc, 0, v2, vcc
	s_addc_u32 s1, s17, 0
	v_mov_b32_e32 v4, s21
	v_cmp_le_u64_e32 vcc, s[0:1], v[3:4]
	v_add_u32_e32 v4, 13, v18
	v_mul_lo_u32 v27, s18, v19
	v_mul_lo_u32 v4, s16, v4
	v_cmp_gt_u64_e64 s[0:1], s[20:21], v[1:2]
	v_lshlrev_b32_e32 v3, 3, v5
	s_or_b64 vcc, vcc, s[0:1]
	v_readfirstlane_b32 s0, v3
	v_add_lshl_u32 v3, v27, v4, 3
	v_add_u32_e32 v4, 26, v18
	v_mul_lo_u32 v6, s16, v18
	v_mul_lo_u32 v4, s16, v4
	v_add_u32_e32 v5, 39, v18
	v_mul_lo_u32 v5, s16, v5
	v_add_lshl_u32 v2, v27, v6, 3
	v_add_lshl_u32 v4, v27, v4, 3
	v_cndmask_b32_e32 v2, -1, v2, vcc
	s_mov_b32 s10, -2
	v_cndmask_b32_e32 v4, -1, v4, vcc
	v_add_lshl_u32 v5, v27, v5, 3
	v_cndmask_b32_e32 v3, -1, v3, vcc
	v_cndmask_b32_e32 v5, -1, v5, vcc
	buffer_load_dwordx2 v[20:21], v2, s[8:11], s0 offen
	buffer_load_dwordx2 v[22:23], v3, s[8:11], s0 offen
	;; [unrolled: 1-line block ×4, first 2 shown]
	v_add_u32_e32 v4, 0x4e, v18
	v_mul_lo_u32 v4, s16, v4
	v_add_u32_e32 v5, 0x5b, v18
	v_add_u32_e32 v6, 52, v18
	v_mul_lo_u32 v5, s16, v5
	v_mul_lo_u32 v6, s16, v6
	v_add_u32_e32 v7, 0x41, v18
	v_mul_lo_u32 v7, s16, v7
	v_add_lshl_u32 v4, v27, v4, 3
	v_cndmask_b32_e32 v10, -1, v4, vcc
	v_add_lshl_u32 v4, v27, v5, 3
	v_add_lshl_u32 v2, v27, v6, 3
	v_cndmask_b32_e32 v11, -1, v4, vcc
	v_add_u32_e32 v4, 0x68, v18
	v_cndmask_b32_e32 v2, -1, v2, vcc
	v_add_lshl_u32 v3, v27, v7, 3
	v_mul_lo_u32 v14, s16, v4
	v_add_u32_e32 v4, 0x75, v18
	v_cndmask_b32_e32 v3, -1, v3, vcc
	v_mul_lo_u32 v15, s16, v4
	buffer_load_dwordx2 v[12:13], v2, s[8:11], s0 offen
	buffer_load_dwordx2 v[8:9], v3, s[8:11], s0 offen
	;; [unrolled: 1-line block ×4, first 2 shown]
	v_add_u32_e32 v10, 0x82, v18
	v_mul_lo_u32 v10, s16, v10
	v_add_u32_e32 v11, 0x8f, v18
	v_mul_lo_u32 v11, s16, v11
	v_add_lshl_u32 v2, v27, v14, 3
	v_cndmask_b32_e32 v2, -1, v2, vcc
	v_add_lshl_u32 v10, v27, v10, 3
	v_add_u32_e32 v14, 0x9c, v18
	v_cndmask_b32_e32 v26, -1, v10, vcc
	v_add_lshl_u32 v28, v27, v11, 3
	buffer_load_dwordx2 v[10:11], v2, s[8:11], s0 offen
	v_mul_lo_u32 v2, s16, v14
	v_add_lshl_u32 v3, v27, v15, 3
	v_cndmask_b32_e32 v3, -1, v3, vcc
	buffer_load_dwordx2 v[14:15], v3, s[8:11], s0 offen
	v_add_lshl_u32 v2, v27, v2, 3
	v_cndmask_b32_e32 v2, -1, v2, vcc
	v_cndmask_b32_e32 v3, -1, v28, vcc
	buffer_load_dwordx2 v[28:29], v26, s[8:11], s0 offen
	buffer_load_dwordx2 v[30:31], v3, s[8:11], s0 offen
	;; [unrolled: 1-line block ×3, first 2 shown]
	s_mov_b32 s5, 0x3f62ad3f
	s_mov_b32 s4, 0x3f116cb1
	;; [unrolled: 1-line block ×7, first 2 shown]
	s_waitcnt vmcnt(11)
	v_add_f32_e32 v2, v20, v22
	v_add_f32_e32 v3, v21, v23
	s_waitcnt vmcnt(10)
	v_add_f32_e32 v2, v2, v24
	v_add_f32_e32 v3, v3, v25
	;; [unrolled: 3-line block ×10, first 2 shown]
	s_waitcnt vmcnt(1)
	v_add_f32_e32 v2, v2, v30
	s_waitcnt vmcnt(0)
	v_add_f32_e32 v26, v32, v22
	v_add_f32_e32 v34, v33, v23
	v_sub_f32_e32 v22, v22, v32
	v_sub_f32_e32 v23, v23, v33
	v_add_f32_e32 v3, v3, v31
	v_add_f32_e32 v2, v2, v32
	v_mul_f32_e32 v32, 0xbeedf032, v23
	v_mul_f32_e32 v35, 0xbeedf032, v22
	;; [unrolled: 1-line block ×12, first 2 shown]
	v_add_f32_e32 v3, v3, v33
	v_fma_f32 v33, v26, s5, -v32
	v_fmac_f32_e32 v32, 0x3f62ad3f, v26
	v_fma_f32 v38, v26, s4, -v37
	v_fmac_f32_e32 v37, 0x3f116cb1, v26
	;; [unrolled: 2-line block ×5, first 2 shown]
	v_fma_f32 v53, v26, s12, -v23
	v_mov_b32_e32 v54, v22
	v_fmac_f32_e32 v23, 0xbf788fa5, v26
	v_add_f32_e32 v33, v20, v33
	v_fma_f32 v36, v34, s5, -v35
	v_fmac_f32_e32 v35, 0x3f62ad3f, v34
	v_add_f32_e32 v32, v20, v32
	v_add_f32_e32 v38, v20, v38
	v_fma_f32 v40, v34, s4, -v39
	v_fmac_f32_e32 v39, 0x3f116cb1, v34
	v_add_f32_e32 v37, v20, v37
	;; [unrolled: 4-line block ×5, first 2 shown]
	v_add_f32_e32 v53, v20, v53
	v_fmac_f32_e32 v54, 0xbf788fa5, v34
	v_add_f32_e32 v20, v20, v23
	v_fma_f32 v22, v34, s12, -v22
	v_add_f32_e32 v23, v31, v25
	v_sub_f32_e32 v25, v25, v31
	v_add_f32_e32 v35, v21, v35
	v_add_f32_e32 v36, v21, v36
	;; [unrolled: 1-line block ×13, first 2 shown]
	v_sub_f32_e32 v24, v24, v30
	v_mul_f32_e32 v26, 0xbf52af12, v25
	v_fma_f32 v30, v22, s4, -v26
	v_mul_f32_e32 v31, 0xbf52af12, v24
	v_add_f32_e32 v30, v30, v33
	v_fma_f32 v33, v23, s4, -v31
	v_fmac_f32_e32 v26, 0x3f116cb1, v22
	v_fmac_f32_e32 v31, 0x3f116cb1, v23
	v_add_f32_e32 v26, v26, v32
	v_add_f32_e32 v32, v33, v36
	v_mul_f32_e32 v33, 0xbf6f5d39, v25
	v_add_f32_e32 v31, v31, v35
	v_fma_f32 v34, v22, s6, -v33
	v_mul_f32_e32 v35, 0xbf6f5d39, v24
	v_fmac_f32_e32 v33, 0xbeb58ec6, v22
	v_fma_f32 v36, v23, s6, -v35
	v_fmac_f32_e32 v35, 0xbeb58ec6, v23
	v_add_f32_e32 v33, v33, v37
	v_mul_f32_e32 v37, 0xbe750f2a, v25
	v_add_f32_e32 v34, v34, v38
	v_add_f32_e32 v35, v35, v39
	v_fma_f32 v38, v22, s12, -v37
	v_mul_f32_e32 v39, 0xbe750f2a, v24
	v_fmac_f32_e32 v37, 0xbf788fa5, v22
	v_add_f32_e32 v36, v36, v40
	v_fma_f32 v40, v23, s12, -v39
	v_fmac_f32_e32 v39, 0xbf788fa5, v23
	v_add_f32_e32 v37, v37, v41
	v_mul_f32_e32 v41, 0x3f29c268, v25
	v_add_f32_e32 v38, v38, v42
	v_add_f32_e32 v39, v39, v43
	v_fma_f32 v42, v22, s7, -v41
	v_mul_f32_e32 v43, 0x3f29c268, v24
	v_fmac_f32_e32 v41, 0xbf3f9e67, v22
	v_add_f32_e32 v40, v40, v44
	v_fma_f32 v44, v23, s7, -v43
	v_fmac_f32_e32 v43, 0xbf3f9e67, v23
	v_add_f32_e32 v41, v41, v45
	v_mul_f32_e32 v45, 0x3f7e222b, v25
	v_add_f32_e32 v42, v42, v46
	v_add_f32_e32 v43, v43, v47
	v_fma_f32 v46, v22, s1, -v45
	v_mul_f32_e32 v47, 0x3f7e222b, v24
	v_fmac_f32_e32 v45, 0x3df6dbef, v22
	v_mul_f32_e32 v25, 0x3eedf032, v25
	v_mul_f32_e32 v24, 0x3eedf032, v24
	v_add_f32_e32 v46, v46, v50
	v_add_f32_e32 v45, v45, v49
	v_fma_f32 v49, v22, s5, -v25
	v_mov_b32_e32 v50, v24
	v_fmac_f32_e32 v25, 0x3f62ad3f, v22
	v_fma_f32 v22, v23, s5, -v24
	v_add_f32_e32 v44, v44, v48
	v_fma_f32 v48, v23, s1, -v47
	v_fmac_f32_e32 v47, 0x3df6dbef, v23
	v_fmac_f32_e32 v50, 0x3f62ad3f, v23
	v_add_f32_e32 v21, v22, v21
	v_add_f32_e32 v22, v28, v16
	;; [unrolled: 1-line block ×3, first 2 shown]
	v_sub_f32_e32 v16, v16, v28
	v_sub_f32_e32 v17, v17, v29
	v_mul_f32_e32 v24, 0xbf7e222b, v17
	v_mul_f32_e32 v28, 0xbf7e222b, v16
	v_add_f32_e32 v20, v25, v20
	v_fma_f32 v25, v22, s1, -v24
	v_fma_f32 v29, v23, s1, -v28
	v_fmac_f32_e32 v24, 0x3df6dbef, v22
	v_fmac_f32_e32 v28, 0x3df6dbef, v23
	v_add_f32_e32 v24, v24, v26
	v_add_f32_e32 v26, v29, v32
	v_mul_f32_e32 v29, 0xbe750f2a, v17
	v_add_f32_e32 v25, v25, v30
	v_add_f32_e32 v28, v28, v31
	v_fma_f32 v30, v22, s12, -v29
	v_mul_f32_e32 v31, 0xbe750f2a, v16
	v_fmac_f32_e32 v29, 0xbf788fa5, v22
	v_fma_f32 v32, v23, s12, -v31
	v_fmac_f32_e32 v31, 0xbf788fa5, v23
	v_add_f32_e32 v29, v29, v33
	v_mul_f32_e32 v33, 0x3f6f5d39, v17
	v_add_f32_e32 v30, v30, v34
	v_add_f32_e32 v31, v31, v35
	v_fma_f32 v34, v22, s6, -v33
	v_mul_f32_e32 v35, 0x3f6f5d39, v16
	v_fmac_f32_e32 v33, 0xbeb58ec6, v22
	v_add_f32_e32 v32, v32, v36
	v_fma_f32 v36, v23, s6, -v35
	v_fmac_f32_e32 v35, 0xbeb58ec6, v23
	v_add_f32_e32 v33, v33, v37
	v_mul_f32_e32 v37, 0x3eedf032, v17
	v_add_f32_e32 v34, v34, v38
	v_add_f32_e32 v35, v35, v39
	v_fma_f32 v38, v22, s5, -v37
	v_mul_f32_e32 v39, 0x3eedf032, v16
	v_fmac_f32_e32 v37, 0x3f62ad3f, v22
	v_add_f32_e32 v36, v36, v40
	v_fma_f32 v40, v23, s5, -v39
	v_fmac_f32_e32 v39, 0x3f62ad3f, v23
	v_add_f32_e32 v37, v37, v41
	v_mul_f32_e32 v41, 0xbf52af12, v17
	v_add_f32_e32 v38, v38, v42
	v_add_f32_e32 v39, v39, v43
	v_fma_f32 v42, v22, s4, -v41
	v_mul_f32_e32 v43, 0xbf52af12, v16
	v_mul_f32_e32 v16, 0xbf29c268, v16
	v_add_f32_e32 v42, v42, v46
	v_fmac_f32_e32 v41, 0x3f116cb1, v22
	v_mul_f32_e32 v17, 0xbf29c268, v17
	v_mov_b32_e32 v46, v16
	v_fma_f32 v16, v23, s7, -v16
	v_add_f32_e32 v41, v41, v45
	v_fma_f32 v45, v22, s7, -v17
	v_fmac_f32_e32 v17, 0xbf3f9e67, v22
	v_add_f32_e32 v16, v16, v21
	v_add_f32_e32 v21, v15, v13
	v_sub_f32_e32 v13, v13, v15
	v_add_f32_e32 v17, v17, v20
	v_add_f32_e32 v20, v14, v12
	v_sub_f32_e32 v12, v12, v14
	v_mul_f32_e32 v14, 0xbf6f5d39, v13
	v_fma_f32 v15, v20, s6, -v14
	v_fmac_f32_e32 v14, 0xbeb58ec6, v20
	v_mul_f32_e32 v22, 0xbf6f5d39, v12
	v_add_f32_e32 v14, v14, v24
	v_mul_f32_e32 v24, 0x3f29c268, v13
	v_add_f32_e32 v40, v40, v44
	v_fma_f32 v44, v23, s4, -v43
	v_fmac_f32_e32 v43, 0x3f116cb1, v23
	v_fmac_f32_e32 v46, 0xbf3f9e67, v23
	v_add_f32_e32 v15, v15, v25
	v_fma_f32 v23, v21, s6, -v22
	v_fma_f32 v25, v20, s7, -v24
	v_fmac_f32_e32 v24, 0xbf3f9e67, v20
	v_fmac_f32_e32 v22, 0xbeb58ec6, v21
	v_add_f32_e32 v23, v23, v26
	v_mul_f32_e32 v26, 0x3f29c268, v12
	v_add_f32_e32 v24, v24, v29
	v_mul_f32_e32 v29, 0x3eedf032, v13
	v_add_f32_e32 v22, v22, v28
	v_add_f32_e32 v25, v25, v30
	v_fma_f32 v28, v21, s7, -v26
	v_fmac_f32_e32 v26, 0xbf3f9e67, v21
	v_fma_f32 v30, v20, s5, -v29
	v_fmac_f32_e32 v29, 0x3f62ad3f, v20
	v_add_f32_e32 v26, v26, v31
	v_mul_f32_e32 v31, 0x3eedf032, v12
	v_add_f32_e32 v29, v29, v33
	v_mul_f32_e32 v33, 0xbf7e222b, v13
	v_add_f32_e32 v28, v28, v32
	v_add_f32_e32 v30, v30, v34
	v_fma_f32 v32, v21, s5, -v31
	v_fmac_f32_e32 v31, 0x3f62ad3f, v21
	v_fma_f32 v34, v20, s1, -v33
	;; [unrolled: 10-line block ×3, first 2 shown]
	v_fmac_f32_e32 v37, 0xbf788fa5, v20
	v_mul_f32_e32 v13, 0x3f52af12, v13
	v_add_f32_e32 v35, v35, v39
	v_mul_f32_e32 v39, 0x3e750f2a, v12
	v_add_f32_e32 v37, v37, v41
	v_fma_f32 v41, v20, s4, -v13
	v_mul_f32_e32 v12, 0x3f52af12, v12
	v_fmac_f32_e32 v13, 0x3f116cb1, v20
	v_add_f32_e32 v38, v38, v42
	v_mov_b32_e32 v42, v12
	v_add_f32_e32 v13, v13, v17
	v_fma_f32 v12, v21, s4, -v12
	v_add_f32_e32 v17, v11, v9
	v_sub_f32_e32 v9, v9, v11
	v_add_f32_e32 v16, v12, v16
	v_add_f32_e32 v12, v10, v8
	v_sub_f32_e32 v8, v8, v10
	v_mul_f32_e32 v10, 0xbf29c268, v9
	v_fma_f32 v11, v12, s7, -v10
	v_add_f32_e32 v11, v11, v15
	v_mul_f32_e32 v15, 0xbf29c268, v8
	v_fmac_f32_e32 v10, 0xbf3f9e67, v12
	v_fma_f32 v20, v17, s7, -v15
	v_fmac_f32_e32 v15, 0xbf3f9e67, v17
	v_add_f32_e32 v10, v10, v14
	v_mul_f32_e32 v14, 0x3f7e222b, v9
	v_add_f32_e32 v36, v36, v40
	v_fma_f32 v40, v21, s12, -v39
	v_fmac_f32_e32 v39, 0xbf788fa5, v21
	v_fmac_f32_e32 v42, 0x3f116cb1, v21
	v_add_f32_e32 v21, v15, v22
	v_fma_f32 v15, v12, s1, -v14
	v_add_f32_e32 v22, v15, v25
	v_mul_f32_e32 v15, 0x3f7e222b, v8
	v_fmac_f32_e32 v14, 0x3df6dbef, v12
	v_add_f32_e32 v20, v20, v23
	v_fma_f32 v23, v17, s1, -v15
	v_fmac_f32_e32 v15, 0x3df6dbef, v17
	v_add_f32_e32 v24, v14, v24
	v_mul_f32_e32 v14, 0xbf52af12, v9
	v_add_f32_e32 v25, v15, v26
	v_fma_f32 v15, v12, s4, -v14
	v_add_f32_e32 v26, v15, v30
	v_mul_f32_e32 v15, 0xbf52af12, v8
	v_fmac_f32_e32 v14, 0x3f116cb1, v12
	v_add_f32_e32 v23, v23, v28
	v_fma_f32 v28, v17, s4, -v15
	v_fmac_f32_e32 v15, 0x3f116cb1, v17
	v_add_f32_e32 v29, v14, v29
	v_mul_f32_e32 v14, 0x3e750f2a, v9
	;; [unrolled: 10-line block ×3, first 2 shown]
	v_add_f32_e32 v47, v47, v51
	v_add_f32_e32 v34, v15, v35
	v_fma_f32 v15, v12, s5, -v14
	v_add_f32_e32 v43, v43, v47
	v_add_f32_e32 v35, v15, v38
	v_mul_f32_e32 v15, 0x3eedf032, v8
	v_add_f32_e32 v50, v50, v54
	v_add_f32_e32 v39, v39, v43
	;; [unrolled: 1-line block ×3, first 2 shown]
	v_fma_f32 v36, v17, s5, -v15
	v_fmac_f32_e32 v15, 0x3f62ad3f, v17
	v_mul_f32_e32 v8, 0xbf6f5d39, v8
	v_add_f32_e32 v49, v49, v53
	v_add_f32_e32 v46, v46, v50
	v_add_f32_e32 v38, v15, v39
	v_mov_b32_e32 v15, v8
	v_add_f32_e32 v48, v48, v52
	v_add_f32_e32 v45, v45, v49
	;; [unrolled: 1-line block ×3, first 2 shown]
	v_fmac_f32_e32 v14, 0x3f62ad3f, v12
	v_mul_f32_e32 v9, 0xbf6f5d39, v9
	v_fmac_f32_e32 v15, 0xbeb58ec6, v17
	v_add_f32_e32 v44, v44, v48
	v_add_f32_e32 v41, v41, v45
	;; [unrolled: 1-line block ×3, first 2 shown]
	v_fma_f32 v14, v12, s6, -v9
	v_add_f32_e32 v15, v15, v42
	v_sub_f32_e32 v42, v5, v7
	v_add_f32_e32 v40, v40, v44
	v_add_f32_e32 v14, v14, v41
	;; [unrolled: 1-line block ×3, first 2 shown]
	v_sub_f32_e32 v41, v4, v6
	v_mul_f32_e32 v4, 0xbe750f2a, v42
	v_add_f32_e32 v36, v36, v40
	v_fmac_f32_e32 v9, 0xbeb58ec6, v12
	v_fma_f32 v8, v17, s6, -v8
	v_add_f32_e32 v40, v7, v5
	v_fma_f32 v5, v39, s12, -v4
	v_add_f32_e32 v12, v9, v13
	v_add_f32_e32 v13, v8, v16
	;; [unrolled: 1-line block ×3, first 2 shown]
	v_mul_f32_e32 v5, 0xbe750f2a, v41
	v_fma_f32 v6, v40, s12, -v5
	v_fmac_f32_e32 v5, 0xbf788fa5, v40
	v_add_f32_e32 v17, v5, v21
	v_add_f32_e32 v5, v6, v20
	v_mul_f32_e32 v6, 0x3eedf032, v42
	v_fma_f32 v7, v39, s5, -v6
	v_add_f32_e32 v20, v7, v22
	v_mul_f32_e32 v7, 0x3eedf032, v41
	v_fma_f32 v8, v40, s5, -v7
	v_fmac_f32_e32 v7, 0x3f62ad3f, v40
	v_add_f32_e32 v21, v7, v25
	v_add_f32_e32 v7, v8, v23
	v_mul_f32_e32 v8, 0xbf29c268, v42
	v_fma_f32 v9, v39, s7, -v8
	v_fmac_f32_e32 v4, 0xbf788fa5, v39
	v_add_f32_e32 v22, v9, v26
	v_mul_f32_e32 v9, 0xbf29c268, v41
	v_add_f32_e32 v4, v4, v10
	v_fma_f32 v10, v40, s7, -v9
	v_fmac_f32_e32 v9, 0xbf3f9e67, v40
	v_add_f32_e32 v23, v9, v30
	v_add_f32_e32 v9, v10, v28
	v_mul_f32_e32 v10, 0x3f52af12, v42
	v_fmac_f32_e32 v6, 0x3f62ad3f, v39
	v_fma_f32 v11, v39, s4, -v10
	v_add_f32_e32 v6, v6, v24
	v_add_f32_e32 v24, v11, v31
	v_mul_f32_e32 v11, 0x3f52af12, v41
	v_fma_f32 v26, v40, s4, -v11
	v_fmac_f32_e32 v11, 0x3f116cb1, v40
	v_add_f32_e32 v25, v11, v34
	v_add_f32_e32 v11, v26, v32
	v_mul_f32_e32 v26, 0xbf6f5d39, v42
	v_fma_f32 v28, v39, s6, -v26
	v_fmac_f32_e32 v26, 0xbeb58ec6, v39
	v_fmac_f32_e32 v10, 0x3f116cb1, v39
	v_add_f32_e32 v30, v26, v37
	v_mul_f32_e32 v26, 0x3f7e222b, v42
	v_add_f32_e32 v10, v10, v33
	v_fma_f32 v32, v39, s1, -v26
	v_mul_f32_e32 v33, 0x3f7e222b, v41
	v_add_f32_e32 v14, v32, v14
	v_mov_b32_e32 v32, v33
	v_fmac_f32_e32 v32, 0x3df6dbef, v40
	v_fmac_f32_e32 v26, 0x3df6dbef, v39
	;; [unrolled: 1-line block ×3, first 2 shown]
	v_add_f32_e32 v15, v32, v15
	v_add_f32_e32 v32, v26, v12
	v_fma_f32 v12, v40, s1, -v33
	v_add_f32_e32 v8, v8, v29
	v_mul_f32_e32 v29, 0xbf6f5d39, v41
	v_add_f32_e32 v33, v12, v13
	v_mul_u32_u24_e32 v12, 0x4e0, v18
	v_lshlrev_b32_e32 v13, 3, v19
	v_fma_f32 v31, v40, s6, -v29
	v_fmac_f32_e32 v29, 0xbeb58ec6, v40
	v_add3_u32 v12, 0, v12, v13
	v_add_f32_e32 v28, v28, v35
	v_add_f32_e32 v29, v29, v38
	;; [unrolled: 1-line block ×3, first 2 shown]
	ds_write2_b64 v12, v[2:3], v[16:17] offset1:12
	ds_write2_b64 v12, v[20:21], v[22:23] offset0:24 offset1:36
	ds_write2_b64 v12, v[24:25], v[28:29] offset0:48 offset1:60
	;; [unrolled: 1-line block ×5, first 2 shown]
	ds_write_b64 v12, v[4:5] offset:1152
	v_mul_hi_u32 v2, v18, s13
	s_waitcnt lgkmcnt(0)
	s_barrier
	v_mul_u32_u24_e32 v2, 13, v2
	v_sub_u32_e32 v25, v18, v2
	v_mul_u32_u24_e32 v2, 12, v25
	v_lshlrev_b32_e32 v10, 3, v2
	global_load_dwordx4 v[2:5], v10, s[2:3]
	global_load_dwordx4 v[6:9], v10, s[2:3] offset:16
	global_load_dwordx4 v[14:17], v10, s[2:3] offset:32
	;; [unrolled: 1-line block ×5, first 2 shown]
	s_movk_i32 s2, 0xfb80
	v_mad_i32_i24 v18, v18, s2, v12
	ds_read2_b64 v[36:39], v18 offset1:156
	v_add_u32_e32 v10, 0x800, v18
	ds_read2_b64 v[10:13], v10 offset0:56 offset1:212
	v_add_u32_e32 v23, 0x1000, v18
	v_add_u32_e32 v26, 0x1800, v18
	ds_read2_b32 v[23:24], v23 offset0:224 offset1:225
	ds_read2_b64 v[40:43], v26 offset0:12 offset1:168
	v_add_u32_e32 v26, 0x2000, v18
	ds_read2_b64 v[44:47], v26 offset0:68 offset1:224
	v_add_u32_e32 v26, 0x2a00, v18
	v_add_u32_e32 v18, 0x3400, v18
	ds_read2_b64 v[48:51], v26 offset0:60 offset1:216
	ds_read2_b64 v[52:55], v18 offset0:52 offset1:208
	s_waitcnt vmcnt(5) lgkmcnt(6)
	v_mul_f32_e32 v18, v3, v39
	v_mul_f32_e32 v26, v3, v38
	v_fma_f32 v18, v2, v38, -v18
	v_fmac_f32_e32 v26, v2, v39
	s_waitcnt lgkmcnt(5)
	v_mul_f32_e32 v2, v5, v11
	v_fma_f32 v38, v4, v10, -v2
	s_waitcnt vmcnt(4)
	v_mul_f32_e32 v2, v7, v13
	v_fma_f32 v56, v6, v12, -v2
	s_waitcnt lgkmcnt(4)
	v_mul_f32_e32 v2, v24, v9
	v_mul_f32_e32 v57, v7, v12
	v_fma_f32 v12, v8, v23, -v2
	s_waitcnt vmcnt(3) lgkmcnt(3)
	v_mul_f32_e32 v2, v41, v15
	v_mul_f32_e32 v39, v5, v10
	v_fma_f32 v5, v40, v14, -v2
	v_mul_f32_e32 v2, v43, v17
	v_fmac_f32_e32 v39, v4, v11
	v_fmac_f32_e32 v57, v6, v13
	v_mul_f32_e32 v13, v9, v23
	v_fma_f32 v4, v42, v16, -v2
	s_waitcnt vmcnt(2) lgkmcnt(2)
	v_mul_f32_e32 v2, v45, v20
	v_fmac_f32_e32 v13, v24, v8
	v_fma_f32 v8, v44, v19, -v2
	v_mul_f32_e32 v2, v47, v22
	v_mul_f32_e32 v6, v40, v15
	v_fma_f32 v9, v46, v21, -v2
	s_waitcnt vmcnt(1) lgkmcnt(1)
	v_mul_f32_e32 v2, v49, v29
	v_fmac_f32_e32 v6, v41, v14
	v_mul_f32_e32 v7, v42, v17
	v_fma_f32 v14, v48, v28, -v2
	v_mul_f32_e32 v2, v51, v31
	v_fmac_f32_e32 v7, v43, v16
	v_mul_f32_e32 v10, v44, v20
	v_fma_f32 v16, v50, v30, -v2
	s_waitcnt vmcnt(0) lgkmcnt(0)
	v_mul_f32_e32 v2, v53, v33
	v_fmac_f32_e32 v10, v45, v19
	v_mul_f32_e32 v11, v46, v22
	v_fma_f32 v19, v52, v32, -v2
	v_mul_f32_e32 v2, v55, v35
	v_fmac_f32_e32 v11, v47, v21
	v_fma_f32 v21, v54, v34, -v2
	v_add_f32_e32 v2, v18, v36
	v_add_f32_e32 v3, v26, v37
	;; [unrolled: 1-line block ×13, first 2 shown]
	v_mul_f32_e32 v15, v48, v29
	v_add_f32_e32 v3, v3, v10
	v_add_f32_e32 v2, v2, v9
	v_fmac_f32_e32 v15, v49, v28
	v_mul_f32_e32 v17, v50, v31
	v_add_f32_e32 v3, v3, v11
	v_add_f32_e32 v2, v2, v14
	v_fmac_f32_e32 v17, v51, v30
	v_mul_f32_e32 v20, v52, v33
	v_mul_f32_e32 v22, v54, v35
	v_add_f32_e32 v3, v3, v15
	v_add_f32_e32 v2, v2, v16
	v_fmac_f32_e32 v20, v53, v32
	v_fmac_f32_e32 v22, v55, v34
	v_add_f32_e32 v3, v3, v17
	v_add_f32_e32 v2, v2, v19
	;; [unrolled: 1-line block ×3, first 2 shown]
	v_sub_f32_e32 v18, v18, v21
	v_add_f32_e32 v3, v3, v20
	v_add_f32_e32 v2, v2, v21
	v_sub_f32_e32 v21, v26, v22
	v_mul_f32_e32 v28, 0xbeedf032, v18
	v_mul_f32_e32 v32, 0xbf52af12, v18
	;; [unrolled: 1-line block ×6, first 2 shown]
	v_add_f32_e32 v3, v3, v22
	v_add_f32_e32 v24, v26, v22
	v_mul_f32_e32 v22, 0xbeedf032, v21
	v_mul_f32_e32 v30, 0xbf52af12, v21
	;; [unrolled: 1-line block ×6, first 2 shown]
	v_mov_b32_e32 v51, v18
	v_fma_f32 v26, v23, s5, -v22
	v_fma_f32 v29, v24, s5, -v28
	v_fmac_f32_e32 v28, 0x3f62ad3f, v24
	v_fmac_f32_e32 v22, 0x3f62ad3f, v23
	v_fma_f32 v31, v23, s4, -v30
	v_fma_f32 v33, v24, s4, -v32
	v_fmac_f32_e32 v32, 0x3f116cb1, v24
	v_fmac_f32_e32 v30, 0x3f116cb1, v23
	;; [unrolled: 4-line block ×5, first 2 shown]
	v_fma_f32 v50, v23, s12, -v21
	v_fmac_f32_e32 v51, 0xbf788fa5, v24
	v_fmac_f32_e32 v21, 0xbf788fa5, v23
	v_fma_f32 v18, v24, s12, -v18
	v_add_f32_e32 v24, v39, v20
	v_sub_f32_e32 v20, v39, v20
	v_add_f32_e32 v26, v26, v36
	v_add_f32_e32 v22, v22, v36
	;; [unrolled: 1-line block ×13, first 2 shown]
	v_mul_f32_e32 v36, 0xbf52af12, v20
	v_add_f32_e32 v28, v28, v37
	v_add_f32_e32 v29, v29, v37
	;; [unrolled: 1-line block ×12, first 2 shown]
	v_sub_f32_e32 v19, v38, v19
	v_fma_f32 v37, v23, s4, -v36
	v_add_f32_e32 v26, v37, v26
	v_mul_f32_e32 v37, 0xbf52af12, v19
	v_fmac_f32_e32 v36, 0x3f116cb1, v23
	v_fma_f32 v38, v24, s4, -v37
	v_fmac_f32_e32 v37, 0x3f116cb1, v24
	v_add_f32_e32 v22, v36, v22
	v_mul_f32_e32 v36, 0xbf6f5d39, v20
	v_add_f32_e32 v28, v37, v28
	v_fma_f32 v37, v23, s6, -v36
	v_add_f32_e32 v31, v37, v31
	v_mul_f32_e32 v37, 0xbf6f5d39, v19
	v_fmac_f32_e32 v36, 0xbeb58ec6, v23
	v_add_f32_e32 v29, v38, v29
	v_fma_f32 v38, v24, s6, -v37
	v_fmac_f32_e32 v37, 0xbeb58ec6, v24
	v_add_f32_e32 v30, v36, v30
	v_mul_f32_e32 v36, 0xbe750f2a, v20
	v_add_f32_e32 v32, v37, v32
	v_fma_f32 v37, v23, s12, -v36
	v_add_f32_e32 v35, v37, v35
	v_mul_f32_e32 v37, 0xbe750f2a, v19
	v_add_f32_e32 v33, v38, v33
	v_fma_f32 v38, v24, s12, -v37
	v_fmac_f32_e32 v36, 0xbf788fa5, v23
	v_add_f32_e32 v34, v36, v34
	v_add_f32_e32 v36, v38, v41
	v_mul_f32_e32 v38, 0x3f29c268, v20
	v_fmac_f32_e32 v37, 0xbf788fa5, v24
	v_fma_f32 v39, v23, s7, -v38
	v_fmac_f32_e32 v38, 0xbf3f9e67, v23
	v_add_f32_e32 v37, v37, v40
	v_mul_f32_e32 v40, 0x3f29c268, v19
	v_add_f32_e32 v38, v38, v42
	v_mul_f32_e32 v42, 0x3f7e222b, v20
	v_add_f32_e32 v39, v39, v43
	v_fma_f32 v41, v24, s7, -v40
	v_fmac_f32_e32 v40, 0xbf3f9e67, v24
	v_fma_f32 v43, v23, s1, -v42
	v_fmac_f32_e32 v42, 0x3df6dbef, v23
	v_mul_f32_e32 v20, 0x3eedf032, v20
	v_add_f32_e32 v40, v40, v44
	v_mul_f32_e32 v44, 0x3f7e222b, v19
	v_add_f32_e32 v42, v42, v46
	v_fma_f32 v46, v23, s5, -v20
	v_mul_f32_e32 v19, 0x3eedf032, v19
	v_fmac_f32_e32 v20, 0x3f62ad3f, v23
	v_add_f32_e32 v43, v43, v47
	v_mov_b32_e32 v47, v19
	v_add_f32_e32 v20, v20, v21
	v_fma_f32 v19, v24, s5, -v19
	v_add_f32_e32 v21, v57, v17
	v_sub_f32_e32 v17, v57, v17
	v_add_f32_e32 v18, v19, v18
	v_add_f32_e32 v19, v56, v16
	v_mul_f32_e32 v23, 0xbf7e222b, v17
	v_add_f32_e32 v41, v41, v45
	v_fma_f32 v45, v24, s1, -v44
	v_fmac_f32_e32 v44, 0x3df6dbef, v24
	v_fmac_f32_e32 v47, 0x3f62ad3f, v24
	v_sub_f32_e32 v16, v56, v16
	v_fma_f32 v24, v19, s1, -v23
	v_add_f32_e32 v24, v24, v26
	v_mul_f32_e32 v26, 0xbf7e222b, v16
	v_add_f32_e32 v44, v44, v48
	v_fma_f32 v48, v21, s1, -v26
	v_fmac_f32_e32 v26, 0x3df6dbef, v21
	v_add_f32_e32 v26, v26, v28
	v_fmac_f32_e32 v23, 0x3df6dbef, v19
	v_mul_f32_e32 v28, 0xbe750f2a, v17
	v_add_f32_e32 v22, v23, v22
	v_add_f32_e32 v23, v48, v29
	v_fma_f32 v29, v19, s12, -v28
	v_add_f32_e32 v29, v29, v31
	v_mul_f32_e32 v31, 0xbe750f2a, v16
	v_fma_f32 v48, v21, s12, -v31
	v_fmac_f32_e32 v31, 0xbf788fa5, v21
	v_add_f32_e32 v31, v31, v32
	v_fmac_f32_e32 v28, 0xbf788fa5, v19
	v_mul_f32_e32 v32, 0x3f6f5d39, v17
	v_add_f32_e32 v28, v28, v30
	v_add_f32_e32 v30, v48, v33
	v_fma_f32 v33, v19, s6, -v32
	v_add_f32_e32 v33, v33, v35
	v_mul_f32_e32 v35, 0x3f6f5d39, v16
	v_fma_f32 v48, v21, s6, -v35
	v_fmac_f32_e32 v32, 0xbeb58ec6, v19
	v_fmac_f32_e32 v35, 0xbeb58ec6, v21
	v_add_f32_e32 v32, v32, v34
	v_add_f32_e32 v34, v48, v36
	v_mul_f32_e32 v36, 0x3eedf032, v17
	v_add_f32_e32 v35, v35, v37
	v_fma_f32 v37, v19, s5, -v36
	v_add_f32_e32 v37, v37, v39
	v_mul_f32_e32 v39, 0x3eedf032, v16
	v_fma_f32 v48, v21, s5, -v39
	v_fmac_f32_e32 v39, 0x3f62ad3f, v21
	v_add_f32_e32 v39, v39, v40
	v_fmac_f32_e32 v36, 0x3f62ad3f, v19
	v_mul_f32_e32 v40, 0xbf52af12, v17
	v_add_f32_e32 v36, v36, v38
	v_add_f32_e32 v38, v48, v41
	v_fma_f32 v41, v19, s4, -v40
	v_add_f32_e32 v41, v41, v43
	v_mul_f32_e32 v43, 0xbf52af12, v16
	v_add_f32_e32 v45, v45, v49
	v_fma_f32 v48, v21, s4, -v43
	v_fmac_f32_e32 v43, 0x3f116cb1, v21
	v_fmac_f32_e32 v40, 0x3f116cb1, v19
	v_mul_f32_e32 v17, 0xbf29c268, v17
	v_mul_f32_e32 v16, 0xbf29c268, v16
	v_add_f32_e32 v43, v43, v44
	v_add_f32_e32 v40, v40, v42
	;; [unrolled: 1-line block ×3, first 2 shown]
	v_fma_f32 v44, v19, s7, -v17
	v_mov_b32_e32 v45, v16
	v_fmac_f32_e32 v17, 0xbf3f9e67, v19
	v_fma_f32 v16, v21, s7, -v16
	v_add_f32_e32 v19, v13, v15
	v_sub_f32_e32 v13, v13, v15
	v_add_f32_e32 v16, v16, v18
	v_add_f32_e32 v18, v12, v14
	v_sub_f32_e32 v12, v12, v14
	v_mul_f32_e32 v14, 0xbf6f5d39, v13
	v_add_f32_e32 v17, v17, v20
	v_fma_f32 v15, v18, s6, -v14
	v_mul_f32_e32 v20, 0xbf6f5d39, v12
	v_fmac_f32_e32 v14, 0xbeb58ec6, v18
	v_fmac_f32_e32 v45, 0xbf3f9e67, v21
	v_fma_f32 v21, v19, s6, -v20
	v_add_f32_e32 v14, v14, v22
	v_mul_f32_e32 v22, 0x3f29c268, v13
	v_add_f32_e32 v21, v21, v23
	v_fma_f32 v23, v18, s7, -v22
	v_fmac_f32_e32 v22, 0xbf3f9e67, v18
	v_add_f32_e32 v15, v15, v24
	v_fmac_f32_e32 v20, 0xbeb58ec6, v19
	v_mul_f32_e32 v24, 0x3f29c268, v12
	v_add_f32_e32 v22, v22, v28
	v_mul_f32_e32 v28, 0x3eedf032, v13
	v_add_f32_e32 v20, v20, v26
	v_add_f32_e32 v23, v23, v29
	v_fma_f32 v26, v19, s7, -v24
	v_fma_f32 v29, v18, s5, -v28
	v_fmac_f32_e32 v28, 0x3f62ad3f, v18
	v_fmac_f32_e32 v24, 0xbf3f9e67, v19
	v_add_f32_e32 v26, v26, v30
	v_mul_f32_e32 v30, 0x3eedf032, v12
	v_add_f32_e32 v28, v28, v32
	v_mul_f32_e32 v32, 0xbf7e222b, v13
	v_add_f32_e32 v24, v24, v31
	v_add_f32_e32 v29, v29, v33
	v_fma_f32 v31, v19, s5, -v30
	v_fma_f32 v33, v18, s1, -v32
	v_fmac_f32_e32 v32, 0x3df6dbef, v18
	v_fmac_f32_e32 v30, 0x3f62ad3f, v19
	v_add_f32_e32 v31, v31, v34
	v_mul_f32_e32 v34, 0xbf7e222b, v12
	v_add_f32_e32 v32, v32, v36
	v_mul_f32_e32 v36, 0x3e750f2a, v13
	v_add_f32_e32 v30, v30, v35
	v_add_f32_e32 v33, v33, v37
	v_fma_f32 v35, v19, s1, -v34
	v_fma_f32 v37, v18, s12, -v36
	v_fmac_f32_e32 v36, 0xbf788fa5, v18
	v_mul_f32_e32 v13, 0x3f52af12, v13
	v_add_f32_e32 v35, v35, v38
	v_mul_f32_e32 v38, 0x3e750f2a, v12
	v_add_f32_e32 v36, v36, v40
	v_fma_f32 v40, v18, s4, -v13
	v_mul_f32_e32 v12, 0x3f52af12, v12
	v_fmac_f32_e32 v13, 0x3f116cb1, v18
	v_add_f32_e32 v37, v37, v41
	v_mov_b32_e32 v41, v12
	v_add_f32_e32 v13, v13, v17
	v_fma_f32 v12, v19, s4, -v12
	v_add_f32_e32 v17, v6, v11
	v_sub_f32_e32 v6, v6, v11
	v_add_f32_e32 v12, v12, v16
	v_add_f32_e32 v16, v5, v9
	v_sub_f32_e32 v5, v5, v9
	v_mul_f32_e32 v9, 0xbf29c268, v6
	v_fma_f32 v11, v16, s7, -v9
	v_add_f32_e32 v11, v11, v15
	v_mul_f32_e32 v15, 0xbf29c268, v5
	v_fma_f32 v18, v17, s7, -v15
	v_fmac_f32_e32 v15, 0xbf3f9e67, v17
	v_fmac_f32_e32 v9, 0xbf3f9e67, v16
	;; [unrolled: 1-line block ×3, first 2 shown]
	v_add_f32_e32 v15, v15, v20
	v_add_f32_e32 v14, v9, v14
	v_mul_f32_e32 v9, 0x3f7e222b, v6
	v_mul_f32_e32 v20, 0x3f7e222b, v5
	v_add_f32_e32 v34, v34, v39
	v_fma_f32 v39, v19, s12, -v38
	v_fmac_f32_e32 v38, 0xbf788fa5, v19
	v_fmac_f32_e32 v41, 0x3f116cb1, v19
	v_add_f32_e32 v18, v18, v21
	v_fma_f32 v19, v16, s1, -v9
	v_fma_f32 v21, v17, s1, -v20
	v_fmac_f32_e32 v20, 0x3df6dbef, v17
	v_fmac_f32_e32 v9, 0x3df6dbef, v16
	v_add_f32_e32 v20, v20, v24
	v_add_f32_e32 v22, v9, v22
	v_mul_f32_e32 v9, 0xbf52af12, v6
	v_mul_f32_e32 v24, 0xbf52af12, v5
	v_add_f32_e32 v19, v19, v23
	v_add_f32_e32 v21, v21, v26
	v_fma_f32 v23, v16, s4, -v9
	v_fma_f32 v26, v17, s4, -v24
	v_fmac_f32_e32 v24, 0x3f116cb1, v17
	v_fmac_f32_e32 v9, 0x3f116cb1, v16
	v_add_f32_e32 v24, v24, v30
	v_add_f32_e32 v30, v9, v28
	v_mul_f32_e32 v9, 0x3e750f2a, v6
	v_add_f32_e32 v31, v26, v31
	v_fma_f32 v26, v16, s12, -v9
	v_add_f32_e32 v33, v26, v33
	v_mul_f32_e32 v26, 0x3e750f2a, v5
	v_fmac_f32_e32 v9, 0xbf788fa5, v16
	v_add_f32_e32 v46, v46, v50
	v_add_f32_e32 v39, v39, v42
	v_fma_f32 v28, v17, s12, -v26
	v_fmac_f32_e32 v26, 0xbf788fa5, v17
	v_add_f32_e32 v42, v9, v32
	v_mul_f32_e32 v9, 0x3eedf032, v6
	v_add_f32_e32 v44, v44, v46
	v_add_f32_e32 v34, v26, v34
	v_fma_f32 v26, v16, s5, -v9
	v_fmac_f32_e32 v9, 0x3f62ad3f, v16
	v_mul_f32_e32 v6, 0xbf6f5d39, v6
	v_add_f32_e32 v40, v40, v44
	v_add_f32_e32 v36, v9, v36
	v_fma_f32 v9, v16, s6, -v6
	v_add_f32_e32 v47, v47, v51
	v_add_f32_e32 v40, v9, v40
	v_mul_f32_e32 v9, 0xbf6f5d39, v5
	v_add_f32_e32 v45, v45, v47
	v_add_f32_e32 v37, v26, v37
	v_mul_f32_e32 v26, 0x3eedf032, v5
	v_mov_b32_e32 v5, v9
	v_add_f32_e32 v41, v41, v45
	v_fmac_f32_e32 v5, 0xbeb58ec6, v17
	v_fmac_f32_e32 v6, 0xbeb58ec6, v16
	v_add_f32_e32 v41, v5, v41
	v_add_f32_e32 v5, v6, v13
	v_fma_f32 v6, v17, s6, -v9
	v_sub_f32_e32 v16, v7, v10
	v_add_f32_e32 v38, v38, v43
	v_add_f32_e32 v6, v6, v12
	;; [unrolled: 1-line block ×3, first 2 shown]
	v_sub_f32_e32 v12, v4, v8
	v_mul_f32_e32 v4, 0xbe750f2a, v16
	v_add_f32_e32 v9, v7, v10
	v_fma_f32 v7, v43, s12, -v4
	v_add_f32_e32 v35, v28, v35
	v_fma_f32 v28, v17, s5, -v26
	v_fmac_f32_e32 v26, 0x3f62ad3f, v17
	v_add_f32_e32 v10, v7, v11
	v_mul_f32_e32 v7, 0xbe750f2a, v12
	v_fmac_f32_e32 v4, 0xbf788fa5, v43
	v_add_f32_e32 v38, v26, v38
	v_fma_f32 v8, v9, s12, -v7
	v_fmac_f32_e32 v7, 0xbf788fa5, v9
	v_add_f32_e32 v26, v4, v14
	v_mul_f32_e32 v4, 0x3eedf032, v16
	v_add_f32_e32 v39, v28, v39
	v_add_f32_e32 v15, v7, v15
	;; [unrolled: 1-line block ×3, first 2 shown]
	v_fma_f32 v7, v43, s5, -v4
	v_mul_f32_e32 v8, 0x3eedf032, v12
	v_fmac_f32_e32 v4, 0x3f62ad3f, v43
	v_fma_f32 v11, v9, s5, -v8
	v_fmac_f32_e32 v8, 0x3f62ad3f, v9
	v_add_f32_e32 v22, v4, v22
	v_mul_f32_e32 v4, 0xbf29c268, v16
	v_add_f32_e32 v23, v23, v29
	v_add_f32_e32 v32, v8, v20
	;; [unrolled: 1-line block ×3, first 2 shown]
	v_fma_f32 v8, v43, s7, -v4
	v_mul_f32_e32 v11, 0xbf29c268, v12
	v_fmac_f32_e32 v4, 0xbf3f9e67, v43
	v_fma_f32 v13, v9, s7, -v11
	v_fmac_f32_e32 v11, 0xbf3f9e67, v9
	v_add_f32_e32 v21, v4, v30
	v_mul_f32_e32 v4, 0x3f52af12, v16
	v_add_f32_e32 v24, v11, v24
	v_fma_f32 v11, v43, s4, -v4
	v_add_f32_e32 v14, v11, v33
	v_mul_f32_e32 v11, 0x3f52af12, v12
	v_add_f32_e32 v30, v13, v31
	v_fma_f32 v13, v9, s4, -v11
	v_fmac_f32_e32 v11, 0x3f116cb1, v9
	v_add_f32_e32 v17, v11, v34
	v_fmac_f32_e32 v4, 0x3f116cb1, v43
	v_mul_f32_e32 v11, 0xbf6f5d39, v16
	v_add_f32_e32 v8, v8, v23
	v_add_f32_e32 v20, v4, v42
	;; [unrolled: 1-line block ×3, first 2 shown]
	v_fma_f32 v4, v43, s6, -v11
	v_fmac_f32_e32 v11, 0xbeb58ec6, v43
	v_mul_f32_e32 v16, 0x3f7e222b, v16
	v_mul_lo_u32 v35, v25, v1
	v_add_f32_e32 v18, v11, v36
	v_fma_f32 v11, v43, s1, -v16
	v_mul_f32_e32 v31, 0x3f7e222b, v12
	v_fmac_f32_e32 v16, 0x3df6dbef, v43
	v_mul_f32_e32 v13, 0xbf6f5d39, v12
	v_mov_b32_e32 v12, v31
	v_add_f32_e32 v33, v16, v5
	v_fma_f32 v5, v9, s1, -v31
	v_mul_lo_u32 v31, v1, 13
	v_add_f32_e32 v34, v5, v6
	v_and_b32_e32 v5, 31, v35
	v_lshrrev_b32_e32 v6, 2, v35
	v_lshl_add_u32 v5, v5, 3, 0
	v_and_b32_e32 v6, 0xf8, v6
	s_add_i32 s1, 0, 0x3f60
	v_add_f32_e32 v7, v7, v19
	v_fma_f32 v19, v9, s6, -v13
	v_fmac_f32_e32 v13, 0xbeb58ec6, v9
	v_fmac_f32_e32 v12, 0x3df6dbef, v9
	v_add_u32_e32 v9, s1, v6
	v_lshrrev_b32_e32 v1, 7, v35
	v_add_u32_e32 v16, v35, v31
	ds_read_b64 v[5:6], v5 offset:16224
	ds_read_b64 v[35:36], v9 offset:256
	v_and_b32_e32 v1, 0xf8, v1
	v_add_u32_e32 v1, s1, v1
	v_and_b32_e32 v9, 31, v16
	v_add_f32_e32 v4, v4, v37
	v_add_f32_e32 v13, v13, v38
	v_add_f32_e32 v19, v19, v39
	v_add_f32_e32 v11, v11, v40
	v_lshl_add_u32 v9, v9, 3, 0
	ds_read_b64 v[37:38], v1 offset:512
	ds_read_b64 v[39:40], v9 offset:16224
	s_waitcnt lgkmcnt(2)
	v_mul_f32_e32 v1, v6, v36
	v_fma_f32 v1, v5, v35, -v1
	v_mul_f32_e32 v5, v5, v36
	v_fmac_f32_e32 v5, v6, v35
	s_waitcnt lgkmcnt(1)
	v_mul_f32_e32 v6, v5, v38
	v_fma_f32 v9, v37, v1, -v6
	v_mul_f32_e32 v1, v1, v38
	v_fmac_f32_e32 v1, v37, v5
	v_mul_f32_e32 v5, v3, v1
	v_fma_f32 v5, v2, v9, -v5
	v_mul_f32_e32 v6, v2, v1
	v_lshrrev_b32_e32 v2, 7, v16
	v_lshrrev_b32_e32 v1, 2, v16
	v_and_b32_e32 v2, 0xf8, v2
	v_add_u32_e32 v16, v16, v31
	v_fmac_f32_e32 v6, v3, v9
	v_and_b32_e32 v1, 0xf8, v1
	v_add_u32_e32 v3, s1, v2
	v_and_b32_e32 v2, 31, v16
	v_add_u32_e32 v1, s1, v1
	v_lshl_add_u32 v9, v2, 3, 0
	v_lshrrev_b32_e32 v2, 2, v16
	v_and_b32_e32 v35, 0xf8, v2
	ds_read_b64 v[1:2], v1 offset:256
	v_add_f32_e32 v12, v12, v41
	v_add_u32_e32 v41, s1, v35
	ds_read_b64 v[35:36], v3 offset:512
	ds_read_b64 v[37:38], v9 offset:16224
	;; [unrolled: 1-line block ×3, first 2 shown]
	s_waitcnt lgkmcnt(3)
	v_mul_f32_e32 v3, v40, v2
	v_mul_f32_e32 v2, v39, v2
	v_fmac_f32_e32 v2, v40, v1
	v_fma_f32 v3, v39, v1, -v3
	s_waitcnt lgkmcnt(2)
	v_mul_f32_e32 v1, v2, v36
	v_fma_f32 v1, v35, v3, -v1
	v_mul_f32_e32 v3, v3, v36
	v_fmac_f32_e32 v3, v35, v2
	v_mul_f32_e32 v2, v15, v3
	v_fma_f32 v9, v10, v1, -v2
	v_mul_f32_e32 v10, v10, v3
	v_fmac_f32_e32 v10, v15, v1
	s_waitcnt lgkmcnt(0)
	v_mul_f32_e32 v1, v38, v42
	v_mul_f32_e32 v15, v37, v42
	v_fma_f32 v3, v37, v41, -v1
	v_fmac_f32_e32 v15, v38, v41
	v_add_u32_e32 v41, v16, v31
	v_and_b32_e32 v2, 31, v41
	v_lshrrev_b32_e32 v1, 7, v16
	v_lshl_add_u32 v16, v2, 3, 0
	v_lshrrev_b32_e32 v2, 2, v41
	v_and_b32_e32 v1, 0xf8, v1
	v_and_b32_e32 v2, 0xf8, v2
	v_add_u32_e32 v1, s1, v1
	v_add_u32_e32 v37, s1, v2
	v_lshrrev_b32_e32 v2, 7, v41
	v_and_b32_e32 v35, 0xf8, v2
	ds_read_b64 v[1:2], v1 offset:512
	v_add_u32_e32 v39, s1, v35
	ds_read_b64 v[35:36], v16 offset:16224
	ds_read_b64 v[37:38], v37 offset:256
	;; [unrolled: 1-line block ×3, first 2 shown]
	s_waitcnt lgkmcnt(3)
	v_mul_f32_e32 v16, v15, v2
	v_mul_f32_e32 v2, v3, v2
	v_fmac_f32_e32 v2, v1, v15
	v_fma_f32 v42, v1, v3, -v16
	v_mul_f32_e32 v1, v32, v2
	v_mul_f32_e32 v16, v7, v2
	s_waitcnt lgkmcnt(1)
	v_mul_f32_e32 v2, v35, v38
	v_fma_f32 v15, v7, v42, -v1
	v_mul_f32_e32 v1, v36, v38
	v_fmac_f32_e32 v2, v36, v37
	v_fma_f32 v1, v35, v37, -v1
	s_waitcnt lgkmcnt(0)
	v_mul_f32_e32 v3, v2, v40
	v_fma_f32 v3, v39, v1, -v3
	v_mul_f32_e32 v1, v1, v40
	v_fmac_f32_e32 v1, v39, v2
	v_mul_f32_e32 v2, v24, v1
	v_fma_f32 v7, v8, v3, -v2
	v_mul_f32_e32 v8, v8, v1
	v_add_u32_e32 v1, v41, v31
	v_fmac_f32_e32 v8, v24, v3
	v_and_b32_e32 v2, 31, v1
	v_lshrrev_b32_e32 v3, 2, v1
	v_lshl_add_u32 v2, v2, 3, 0
	v_and_b32_e32 v3, 0xf8, v3
	v_fmac_f32_e32 v16, v32, v42
	v_add_u32_e32 v3, s1, v3
	v_lshrrev_b32_e32 v24, 7, v1
	v_add_u32_e32 v32, v1, v31
	ds_read_b64 v[1:2], v2 offset:16224
	ds_read_b64 v[35:36], v3 offset:256
	v_and_b32_e32 v24, 0xf8, v24
	v_add_u32_e32 v24, s1, v24
	v_and_b32_e32 v3, 31, v32
	v_lshl_add_u32 v3, v3, 3, 0
	ds_read_b64 v[37:38], v24 offset:512
	ds_read_b64 v[39:40], v3 offset:16224
	s_waitcnt lgkmcnt(2)
	v_mul_f32_e32 v3, v2, v36
	v_fma_f32 v3, v1, v35, -v3
	v_mul_f32_e32 v1, v1, v36
	v_fmac_f32_e32 v1, v2, v35
	s_waitcnt lgkmcnt(1)
	v_mul_f32_e32 v2, v1, v38
	v_fma_f32 v24, v37, v3, -v2
	v_mul_f32_e32 v2, v3, v38
	v_lshrrev_b32_e32 v3, 2, v32
	v_and_b32_e32 v3, 0xf8, v3
	v_fmac_f32_e32 v2, v37, v1
	v_add_u32_e32 v3, s1, v3
	v_mul_f32_e32 v1, v17, v2
	v_mul_f32_e32 v2, v14, v2
	ds_read_b64 v[35:36], v3 offset:256
	v_fma_f32 v1, v14, v24, -v1
	v_fmac_f32_e32 v2, v17, v24
	v_lshrrev_b32_e32 v14, 7, v32
	v_add_u32_e32 v17, v32, v31
	v_and_b32_e32 v14, 0xf8, v14
	v_lshrrev_b32_e32 v32, 2, v17
	v_add_u32_e32 v14, s1, v14
	v_and_b32_e32 v24, 31, v17
	v_and_b32_e32 v32, 0xf8, v32
	v_lshl_add_u32 v24, v24, 3, 0
	v_add_u32_e32 v3, s1, v32
	ds_read_b64 v[37:38], v14 offset:512
	ds_read_b64 v[41:42], v24 offset:16224
	;; [unrolled: 1-line block ×3, first 2 shown]
	s_waitcnt lgkmcnt(3)
	v_mul_f32_e32 v3, v40, v36
	v_fma_f32 v3, v39, v35, -v3
	v_mul_f32_e32 v14, v39, v36
	v_fmac_f32_e32 v14, v40, v35
	s_waitcnt lgkmcnt(2)
	v_mul_f32_e32 v32, v3, v38
	v_mul_f32_e32 v24, v14, v38
	v_fmac_f32_e32 v32, v37, v14
	v_fma_f32 v24, v37, v3, -v24
	v_mul_f32_e32 v3, v13, v32
	v_fma_f32 v3, v4, v24, -v3
	v_mul_f32_e32 v4, v4, v32
	v_fmac_f32_e32 v4, v13, v24
	s_waitcnt lgkmcnt(0)
	v_mul_f32_e32 v13, v42, v44
	v_fma_f32 v24, v41, v43, -v13
	v_lshrrev_b32_e32 v13, 7, v17
	v_add_u32_e32 v17, v17, v31
	v_and_b32_e32 v14, 31, v17
	v_lshl_add_u32 v35, v14, 3, 0
	v_lshrrev_b32_e32 v14, 2, v17
	v_and_b32_e32 v13, 0xf8, v13
	v_and_b32_e32 v14, 0xf8, v14
	v_add_u32_e32 v13, s1, v13
	v_add_u32_e32 v37, s1, v14
	v_lshrrev_b32_e32 v14, 7, v17
	v_and_b32_e32 v36, 0xf8, v14
	ds_read_b64 v[13:14], v13 offset:512
	v_mul_f32_e32 v32, v41, v44
	v_add_u32_e32 v39, s1, v36
	v_fmac_f32_e32 v32, v42, v43
	ds_read_b64 v[35:36], v35 offset:16224
	ds_read_b64 v[37:38], v37 offset:256
	;; [unrolled: 1-line block ×3, first 2 shown]
	s_waitcnt lgkmcnt(3)
	v_mul_f32_e32 v41, v32, v14
	v_mul_f32_e32 v14, v24, v14
	v_fmac_f32_e32 v14, v13, v32
	v_fma_f32 v41, v13, v24, -v41
	v_mul_f32_e32 v13, v12, v14
	v_fma_f32 v13, v11, v41, -v13
	v_mul_f32_e32 v14, v11, v14
	s_waitcnt lgkmcnt(1)
	v_mul_f32_e32 v11, v36, v38
	v_fmac_f32_e32 v14, v12, v41
	v_fma_f32 v11, v35, v37, -v11
	v_mul_f32_e32 v12, v35, v38
	v_fmac_f32_e32 v12, v36, v37
	s_waitcnt lgkmcnt(0)
	v_mul_f32_e32 v32, v11, v40
	v_mul_f32_e32 v24, v12, v40
	v_fmac_f32_e32 v32, v39, v12
	v_add_u32_e32 v17, v17, v31
	v_fma_f32 v24, v39, v11, -v24
	v_mul_f32_e32 v11, v34, v32
	v_mul_f32_e32 v12, v33, v32
	v_lshrrev_b32_e32 v32, 2, v17
	v_and_b32_e32 v32, 0xf8, v32
	v_fma_f32 v11, v33, v24, -v11
	v_fmac_f32_e32 v12, v34, v24
	v_and_b32_e32 v24, 31, v17
	v_add_u32_e32 v34, s1, v32
	v_lshrrev_b32_e32 v32, 7, v17
	v_lshl_add_u32 v24, v24, 3, 0
	v_and_b32_e32 v32, 0xf8, v32
	v_add_u32_e32 v36, s1, v32
	ds_read_b64 v[32:33], v24 offset:16224
	ds_read_b64 v[34:35], v34 offset:256
	v_add_u32_e32 v40, v17, v31
	v_and_b32_e32 v17, 31, v40
	v_lshl_add_u32 v17, v17, 3, 0
	ds_read_b64 v[36:37], v36 offset:512
	ds_read_b64 v[38:39], v17 offset:16224
	s_waitcnt lgkmcnt(2)
	v_mul_f32_e32 v17, v33, v35
	v_fma_f32 v17, v32, v34, -v17
	v_mul_f32_e32 v24, v32, v35
	v_fmac_f32_e32 v24, v33, v34
	s_waitcnt lgkmcnt(1)
	v_mul_f32_e32 v33, v17, v37
	v_mul_f32_e32 v32, v24, v37
	v_fmac_f32_e32 v33, v36, v24
	v_fma_f32 v32, v36, v17, -v32
	v_mul_f32_e32 v17, v19, v33
	v_fma_f32 v17, v18, v32, -v17
	v_mul_f32_e32 v18, v18, v33
	v_fmac_f32_e32 v18, v19, v32
	v_lshrrev_b32_e32 v19, 2, v40
	v_add_u32_e32 v42, v40, v31
	v_and_b32_e32 v19, 0xf8, v19
	v_and_b32_e32 v32, 31, v42
	v_add_u32_e32 v19, s1, v19
	v_lshl_add_u32 v36, v32, 3, 0
	v_lshrrev_b32_e32 v32, 2, v42
	v_and_b32_e32 v34, 0xf8, v32
	ds_read_b64 v[32:33], v19 offset:256
	v_lshrrev_b32_e32 v24, 7, v40
	v_and_b32_e32 v24, 0xf8, v24
	v_add_u32_e32 v24, s1, v24
	v_add_u32_e32 v19, s1, v34
	ds_read_b64 v[34:35], v24 offset:512
	ds_read_b64 v[36:37], v36 offset:16224
	ds_read_b64 v[40:41], v19 offset:256
	s_waitcnt lgkmcnt(3)
	v_mul_f32_e32 v19, v39, v33
	v_fma_f32 v19, v38, v32, -v19
	v_mul_f32_e32 v24, v38, v33
	v_fmac_f32_e32 v24, v39, v32
	s_waitcnt lgkmcnt(2)
	v_mul_f32_e32 v33, v19, v35
	v_mul_f32_e32 v32, v24, v35
	v_fmac_f32_e32 v33, v34, v24
	v_fma_f32 v32, v34, v19, -v32
	v_mul_f32_e32 v19, v23, v33
	v_fma_f32 v19, v20, v32, -v19
	v_mul_f32_e32 v20, v20, v33
	v_fmac_f32_e32 v20, v23, v32
	v_lshrrev_b32_e32 v32, 7, v42
	v_and_b32_e32 v32, 0xf8, v32
	v_add_u32_e32 v33, s1, v32
	v_add_u32_e32 v32, v42, v31
	v_and_b32_e32 v34, 31, v32
	v_lshl_add_u32 v35, v34, 3, 0
	v_lshrrev_b32_e32 v34, 2, v32
	s_waitcnt lgkmcnt(0)
	v_mul_f32_e32 v24, v36, v41
	v_and_b32_e32 v34, 0xf8, v34
	v_mul_f32_e32 v23, v37, v41
	v_fmac_f32_e32 v24, v37, v40
	v_add_u32_e32 v37, s1, v34
	v_lshrrev_b32_e32 v34, 7, v32
	v_fma_f32 v23, v36, v40, -v23
	v_and_b32_e32 v36, 0xf8, v34
	ds_read_b64 v[33:34], v33 offset:512
	v_add_u32_e32 v39, s1, v36
	ds_read_b64 v[35:36], v35 offset:16224
	ds_read_b64 v[37:38], v37 offset:256
	;; [unrolled: 1-line block ×3, first 2 shown]
	s_waitcnt lgkmcnt(3)
	v_mul_f32_e32 v41, v24, v34
	v_mul_f32_e32 v34, v23, v34
	v_fmac_f32_e32 v34, v33, v24
	v_fma_f32 v41, v33, v23, -v41
	v_mul_f32_e32 v23, v30, v34
	v_fma_f32 v23, v21, v41, -v23
	v_mul_f32_e32 v24, v21, v34
	s_waitcnt lgkmcnt(1)
	v_mul_f32_e32 v21, v36, v38
	v_fmac_f32_e32 v24, v30, v41
	v_fma_f32 v21, v35, v37, -v21
	v_mul_f32_e32 v30, v35, v38
	v_fmac_f32_e32 v30, v36, v37
	s_waitcnt lgkmcnt(0)
	v_mul_f32_e32 v34, v21, v40
	v_mul_f32_e32 v33, v30, v40
	v_fmac_f32_e32 v34, v39, v30
	v_fma_f32 v33, v39, v21, -v33
	v_mul_f32_e32 v21, v29, v34
	v_fma_f32 v21, v22, v33, -v21
	v_mul_f32_e32 v22, v22, v34
	v_fmac_f32_e32 v22, v29, v33
	v_add_u32_e32 v33, v32, v31
	v_lshrrev_b32_e32 v30, 2, v33
	v_and_b32_e32 v29, 31, v33
	v_and_b32_e32 v30, 0xf8, v30
	v_lshl_add_u32 v29, v29, 3, 0
	v_add_u32_e32 v31, s1, v30
	v_lshrrev_b32_e32 v33, 7, v33
	ds_read_b64 v[29:30], v29 offset:16224
	ds_read_b64 v[31:32], v31 offset:256
	v_and_b32_e32 v33, 0xf8, v33
	v_add_u32_e32 v33, s1, v33
	ds_read_b64 v[33:34], v33 offset:512
	s_mov_b32 s1, 0x1a41a42
	v_mul_hi_u32 v0, v0, s1
	s_waitcnt lgkmcnt(1)
	v_mul_f32_e32 v35, v30, v32
	v_fma_f32 v35, v29, v31, -v35
	v_mul_f32_e32 v29, v29, v32
	v_fmac_f32_e32 v29, v30, v31
	s_waitcnt lgkmcnt(0)
	v_mul_f32_e32 v31, v35, v34
	s_movk_i32 s1, 0xa9
	v_mul_f32_e32 v30, v29, v34
	v_fmac_f32_e32 v31, v33, v29
	v_mad_u32_u24 v0, v0, s1, v25
	v_fma_f32 v30, v33, v35, -v30
	v_mul_f32_e32 v29, v28, v31
	v_mul_lo_u32 v32, s16, v0
	v_fma_f32 v25, v26, v30, -v29
	v_add_u32_e32 v29, 13, v0
	v_mul_lo_u32 v29, s16, v29
	v_mul_f32_e32 v26, v26, v31
	v_fmac_f32_e32 v26, v28, v30
	v_add_lshl_u32 v28, v27, v32, 3
	v_cndmask_b32_e32 v28, -1, v28, vcc
	buffer_store_dwordx2 v[5:6], v28, s[8:11], s0 offen
	v_add_u32_e32 v5, 26, v0
	v_add_lshl_u32 v6, v27, v29, 3
	v_mul_lo_u32 v5, s16, v5
	v_cndmask_b32_e32 v6, -1, v6, vcc
	buffer_store_dwordx2 v[9:10], v6, s[8:11], s0 offen
	v_add_u32_e32 v6, 39, v0
	v_mul_lo_u32 v6, s16, v6
	v_add_lshl_u32 v5, v27, v5, 3
	v_cndmask_b32_e32 v5, -1, v5, vcc
	buffer_store_dwordx2 v[15:16], v5, s[8:11], s0 offen
	v_add_u32_e32 v5, 52, v0
	v_add_lshl_u32 v6, v27, v6, 3
	v_mul_lo_u32 v5, s16, v5
	v_cndmask_b32_e32 v6, -1, v6, vcc
	buffer_store_dwordx2 v[7:8], v6, s[8:11], s0 offen
	v_add_u32_e32 v6, 0x41, v0
	v_mul_lo_u32 v6, s16, v6
	;; [unrolled: 10-line block ×4, first 2 shown]
	v_add_lshl_u32 v1, v27, v1, 3
	v_cndmask_b32_e32 v1, -1, v1, vcc
	buffer_store_dwordx2 v[17:18], v1, s[8:11], s0 offen
	v_add_u32_e32 v1, 0x82, v0
	v_add_lshl_u32 v2, v27, v2, 3
	v_mul_lo_u32 v1, s16, v1
	v_cndmask_b32_e32 v2, -1, v2, vcc
	buffer_store_dwordx2 v[19:20], v2, s[8:11], s0 offen
	v_add_u32_e32 v2, 0x8f, v0
	v_add_u32_e32 v0, 0x9c, v0
	v_mul_lo_u32 v2, s16, v2
	v_mul_lo_u32 v0, s16, v0
	v_add_lshl_u32 v1, v27, v1, 3
	v_cndmask_b32_e32 v1, -1, v1, vcc
	buffer_store_dwordx2 v[23:24], v1, s[8:11], s0 offen
	v_add_lshl_u32 v1, v27, v2, 3
	v_add_lshl_u32 v0, v27, v0, 3
	v_cndmask_b32_e32 v1, -1, v1, vcc
	v_cndmask_b32_e32 v0, -1, v0, vcc
	buffer_store_dwordx2 v[21:22], v1, s[8:11], s0 offen
	buffer_store_dwordx2 v[25:26], v0, s[8:11], s0 offen
	s_endpgm
	.section	.rodata,"a",@progbits
	.p2align	6, 0x0
	.amdhsa_kernel fft_rtc_fwd_len169_factors_13_13_wgs_156_tpt_13_sp_ip_CI_sbcc_twdbase5_3step_dirReg_intrinsicReadWrite
		.amdhsa_group_segment_fixed_size 0
		.amdhsa_private_segment_fixed_size 0
		.amdhsa_kernarg_size 96
		.amdhsa_user_sgpr_count 6
		.amdhsa_user_sgpr_private_segment_buffer 1
		.amdhsa_user_sgpr_dispatch_ptr 0
		.amdhsa_user_sgpr_queue_ptr 0
		.amdhsa_user_sgpr_kernarg_segment_ptr 1
		.amdhsa_user_sgpr_dispatch_id 0
		.amdhsa_user_sgpr_flat_scratch_init 0
		.amdhsa_user_sgpr_private_segment_size 0
		.amdhsa_uses_dynamic_stack 0
		.amdhsa_system_sgpr_private_segment_wavefront_offset 0
		.amdhsa_system_sgpr_workgroup_id_x 1
		.amdhsa_system_sgpr_workgroup_id_y 0
		.amdhsa_system_sgpr_workgroup_id_z 0
		.amdhsa_system_sgpr_workgroup_info 0
		.amdhsa_system_vgpr_workitem_id 0
		.amdhsa_next_free_vgpr 58
		.amdhsa_next_free_sgpr 41
		.amdhsa_reserve_vcc 1
		.amdhsa_reserve_flat_scratch 0
		.amdhsa_float_round_mode_32 0
		.amdhsa_float_round_mode_16_64 0
		.amdhsa_float_denorm_mode_32 3
		.amdhsa_float_denorm_mode_16_64 3
		.amdhsa_dx10_clamp 1
		.amdhsa_ieee_mode 1
		.amdhsa_fp16_overflow 0
		.amdhsa_exception_fp_ieee_invalid_op 0
		.amdhsa_exception_fp_denorm_src 0
		.amdhsa_exception_fp_ieee_div_zero 0
		.amdhsa_exception_fp_ieee_overflow 0
		.amdhsa_exception_fp_ieee_underflow 0
		.amdhsa_exception_fp_ieee_inexact 0
		.amdhsa_exception_int_div_zero 0
	.end_amdhsa_kernel
	.text
.Lfunc_end0:
	.size	fft_rtc_fwd_len169_factors_13_13_wgs_156_tpt_13_sp_ip_CI_sbcc_twdbase5_3step_dirReg_intrinsicReadWrite, .Lfunc_end0-fft_rtc_fwd_len169_factors_13_13_wgs_156_tpt_13_sp_ip_CI_sbcc_twdbase5_3step_dirReg_intrinsicReadWrite
                                        ; -- End function
	.section	.AMDGPU.csdata,"",@progbits
; Kernel info:
; codeLenInByte = 10104
; NumSgprs: 45
; NumVgprs: 58
; ScratchSize: 0
; MemoryBound: 0
; FloatMode: 240
; IeeeMode: 1
; LDSByteSize: 0 bytes/workgroup (compile time only)
; SGPRBlocks: 5
; VGPRBlocks: 14
; NumSGPRsForWavesPerEU: 45
; NumVGPRsForWavesPerEU: 58
; Occupancy: 4
; WaveLimiterHint : 0
; COMPUTE_PGM_RSRC2:SCRATCH_EN: 0
; COMPUTE_PGM_RSRC2:USER_SGPR: 6
; COMPUTE_PGM_RSRC2:TRAP_HANDLER: 0
; COMPUTE_PGM_RSRC2:TGID_X_EN: 1
; COMPUTE_PGM_RSRC2:TGID_Y_EN: 0
; COMPUTE_PGM_RSRC2:TGID_Z_EN: 0
; COMPUTE_PGM_RSRC2:TIDIG_COMP_CNT: 0
	.type	__hip_cuid_499e818f42e8c255,@object ; @__hip_cuid_499e818f42e8c255
	.section	.bss,"aw",@nobits
	.globl	__hip_cuid_499e818f42e8c255
__hip_cuid_499e818f42e8c255:
	.byte	0                               ; 0x0
	.size	__hip_cuid_499e818f42e8c255, 1

	.ident	"AMD clang version 19.0.0git (https://github.com/RadeonOpenCompute/llvm-project roc-6.4.0 25133 c7fe45cf4b819c5991fe208aaa96edf142730f1d)"
	.section	".note.GNU-stack","",@progbits
	.addrsig
	.addrsig_sym __hip_cuid_499e818f42e8c255
	.amdgpu_metadata
---
amdhsa.kernels:
  - .args:
      - .actual_access:  read_only
        .address_space:  global
        .offset:         0
        .size:           8
        .value_kind:     global_buffer
      - .address_space:  global
        .offset:         8
        .size:           8
        .value_kind:     global_buffer
      - .offset:         16
        .size:           8
        .value_kind:     by_value
      - .actual_access:  read_only
        .address_space:  global
        .offset:         24
        .size:           8
        .value_kind:     global_buffer
      - .actual_access:  read_only
        .address_space:  global
        .offset:         32
        .size:           8
        .value_kind:     global_buffer
      - .offset:         40
        .size:           8
        .value_kind:     by_value
      - .actual_access:  read_only
        .address_space:  global
        .offset:         48
        .size:           8
        .value_kind:     global_buffer
      - .actual_access:  read_only
        .address_space:  global
        .offset:         56
        .size:           8
        .value_kind:     global_buffer
      - .offset:         64
        .size:           4
        .value_kind:     by_value
      - .actual_access:  read_only
        .address_space:  global
        .offset:         72
        .size:           8
        .value_kind:     global_buffer
      - .actual_access:  read_only
        .address_space:  global
        .offset:         80
        .size:           8
        .value_kind:     global_buffer
      - .address_space:  global
        .offset:         88
        .size:           8
        .value_kind:     global_buffer
    .group_segment_fixed_size: 0
    .kernarg_segment_align: 8
    .kernarg_segment_size: 96
    .language:       OpenCL C
    .language_version:
      - 2
      - 0
    .max_flat_workgroup_size: 156
    .name:           fft_rtc_fwd_len169_factors_13_13_wgs_156_tpt_13_sp_ip_CI_sbcc_twdbase5_3step_dirReg_intrinsicReadWrite
    .private_segment_fixed_size: 0
    .sgpr_count:     45
    .sgpr_spill_count: 0
    .symbol:         fft_rtc_fwd_len169_factors_13_13_wgs_156_tpt_13_sp_ip_CI_sbcc_twdbase5_3step_dirReg_intrinsicReadWrite.kd
    .uniform_work_group_size: 1
    .uses_dynamic_stack: false
    .vgpr_count:     58
    .vgpr_spill_count: 0
    .wavefront_size: 64
amdhsa.target:   amdgcn-amd-amdhsa--gfx906
amdhsa.version:
  - 1
  - 2
...

	.end_amdgpu_metadata
